;; amdgpu-corpus repo=ROCm/rocFFT kind=compiled arch=gfx906 opt=O3
	.text
	.amdgcn_target "amdgcn-amd-amdhsa--gfx906"
	.amdhsa_code_object_version 6
	.protected	fft_rtc_fwd_len2500_factors_10_5_10_5_wgs_250_tpt_250_halfLds_dp_op_CI_CI_sbrr_dirReg ; -- Begin function fft_rtc_fwd_len2500_factors_10_5_10_5_wgs_250_tpt_250_halfLds_dp_op_CI_CI_sbrr_dirReg
	.globl	fft_rtc_fwd_len2500_factors_10_5_10_5_wgs_250_tpt_250_halfLds_dp_op_CI_CI_sbrr_dirReg
	.p2align	8
	.type	fft_rtc_fwd_len2500_factors_10_5_10_5_wgs_250_tpt_250_halfLds_dp_op_CI_CI_sbrr_dirReg,@function
fft_rtc_fwd_len2500_factors_10_5_10_5_wgs_250_tpt_250_halfLds_dp_op_CI_CI_sbrr_dirReg: ; @fft_rtc_fwd_len2500_factors_10_5_10_5_wgs_250_tpt_250_halfLds_dp_op_CI_CI_sbrr_dirReg
; %bb.0:
	s_load_dwordx4 s[16:19], s[4:5], 0x18
	s_load_dwordx4 s[12:15], s[4:5], 0x0
	;; [unrolled: 1-line block ×3, first 2 shown]
	v_mul_u32_u24_e32 v1, 0x107, v0
	v_add_u32_sdwa v6, s6, v1 dst_sel:DWORD dst_unused:UNUSED_PAD src0_sel:DWORD src1_sel:WORD_1
	s_waitcnt lgkmcnt(0)
	s_load_dwordx2 s[20:21], s[16:17], 0x0
	s_load_dwordx2 s[2:3], s[18:19], 0x0
	v_cmp_lt_u64_e64 s[0:1], s[14:15], 2
	v_mov_b32_e32 v1, 0
	v_mov_b32_e32 v4, 0
	;; [unrolled: 1-line block ×3, first 2 shown]
	s_and_b64 vcc, exec, s[0:1]
	v_mov_b32_e32 v5, 0
	s_cbranch_vccnz .LBB0_8
; %bb.1:
	s_load_dwordx2 s[0:1], s[4:5], 0x10
	s_add_u32 s6, s18, 8
	s_addc_u32 s7, s19, 0
	s_add_u32 s22, s16, 8
	v_mov_b32_e32 v4, 0
	s_addc_u32 s23, s17, 0
	v_mov_b32_e32 v5, 0
	s_waitcnt lgkmcnt(0)
	s_add_u32 s24, s0, 8
	v_mov_b32_e32 v41, v5
	s_addc_u32 s25, s1, 0
	s_mov_b64 s[26:27], 1
	v_mov_b32_e32 v40, v4
.LBB0_2:                                ; =>This Inner Loop Header: Depth=1
	s_load_dwordx2 s[28:29], s[24:25], 0x0
                                        ; implicit-def: $vgpr42_vgpr43
	s_waitcnt lgkmcnt(0)
	v_or_b32_e32 v2, s29, v7
	v_cmp_ne_u64_e32 vcc, 0, v[1:2]
	s_and_saveexec_b64 s[0:1], vcc
	s_xor_b64 s[30:31], exec, s[0:1]
	s_cbranch_execz .LBB0_4
; %bb.3:                                ;   in Loop: Header=BB0_2 Depth=1
	v_cvt_f32_u32_e32 v2, s28
	v_cvt_f32_u32_e32 v3, s29
	s_sub_u32 s0, 0, s28
	s_subb_u32 s1, 0, s29
	v_mac_f32_e32 v2, 0x4f800000, v3
	v_rcp_f32_e32 v2, v2
	v_mul_f32_e32 v2, 0x5f7ffffc, v2
	v_mul_f32_e32 v3, 0x2f800000, v2
	v_trunc_f32_e32 v3, v3
	v_mac_f32_e32 v2, 0xcf800000, v3
	v_cvt_u32_f32_e32 v3, v3
	v_cvt_u32_f32_e32 v2, v2
	v_mul_lo_u32 v8, s0, v3
	v_mul_hi_u32 v9, s0, v2
	v_mul_lo_u32 v11, s1, v2
	v_mul_lo_u32 v10, s0, v2
	v_add_u32_e32 v8, v9, v8
	v_add_u32_e32 v8, v8, v11
	v_mul_hi_u32 v9, v2, v10
	v_mul_lo_u32 v11, v2, v8
	v_mul_hi_u32 v13, v2, v8
	v_mul_hi_u32 v12, v3, v10
	v_mul_lo_u32 v10, v3, v10
	v_mul_hi_u32 v14, v3, v8
	v_add_co_u32_e32 v9, vcc, v9, v11
	v_addc_co_u32_e32 v11, vcc, 0, v13, vcc
	v_mul_lo_u32 v8, v3, v8
	v_add_co_u32_e32 v9, vcc, v9, v10
	v_addc_co_u32_e32 v9, vcc, v11, v12, vcc
	v_addc_co_u32_e32 v10, vcc, 0, v14, vcc
	v_add_co_u32_e32 v8, vcc, v9, v8
	v_addc_co_u32_e32 v9, vcc, 0, v10, vcc
	v_add_co_u32_e32 v2, vcc, v2, v8
	v_addc_co_u32_e32 v3, vcc, v3, v9, vcc
	v_mul_lo_u32 v8, s0, v3
	v_mul_hi_u32 v9, s0, v2
	v_mul_lo_u32 v10, s1, v2
	v_mul_lo_u32 v11, s0, v2
	v_add_u32_e32 v8, v9, v8
	v_add_u32_e32 v8, v8, v10
	v_mul_lo_u32 v12, v2, v8
	v_mul_hi_u32 v13, v2, v11
	v_mul_hi_u32 v14, v2, v8
	;; [unrolled: 1-line block ×3, first 2 shown]
	v_mul_lo_u32 v11, v3, v11
	v_mul_hi_u32 v9, v3, v8
	v_add_co_u32_e32 v12, vcc, v13, v12
	v_addc_co_u32_e32 v13, vcc, 0, v14, vcc
	v_mul_lo_u32 v8, v3, v8
	v_add_co_u32_e32 v11, vcc, v12, v11
	v_addc_co_u32_e32 v10, vcc, v13, v10, vcc
	v_addc_co_u32_e32 v9, vcc, 0, v9, vcc
	v_add_co_u32_e32 v8, vcc, v10, v8
	v_addc_co_u32_e32 v9, vcc, 0, v9, vcc
	v_add_co_u32_e32 v8, vcc, v2, v8
	v_addc_co_u32_e32 v9, vcc, v3, v9, vcc
	v_mad_u64_u32 v[2:3], s[0:1], v6, v9, 0
	v_mul_hi_u32 v10, v6, v8
	v_add_co_u32_e32 v10, vcc, v10, v2
	v_addc_co_u32_e32 v11, vcc, 0, v3, vcc
	v_mad_u64_u32 v[2:3], s[0:1], v7, v8, 0
	v_mad_u64_u32 v[8:9], s[0:1], v7, v9, 0
	v_add_co_u32_e32 v2, vcc, v10, v2
	v_addc_co_u32_e32 v2, vcc, v11, v3, vcc
	v_addc_co_u32_e32 v3, vcc, 0, v9, vcc
	v_add_co_u32_e32 v8, vcc, v2, v8
	v_addc_co_u32_e32 v9, vcc, 0, v3, vcc
	v_mul_lo_u32 v10, s29, v8
	v_mul_lo_u32 v11, s28, v9
	v_mad_u64_u32 v[2:3], s[0:1], s28, v8, 0
	v_add3_u32 v3, v3, v11, v10
	v_sub_u32_e32 v10, v7, v3
	v_mov_b32_e32 v11, s29
	v_sub_co_u32_e32 v2, vcc, v6, v2
	v_subb_co_u32_e64 v10, s[0:1], v10, v11, vcc
	v_subrev_co_u32_e64 v11, s[0:1], s28, v2
	v_subbrev_co_u32_e64 v10, s[0:1], 0, v10, s[0:1]
	v_cmp_le_u32_e64 s[0:1], s29, v10
	v_cndmask_b32_e64 v12, 0, -1, s[0:1]
	v_cmp_le_u32_e64 s[0:1], s28, v11
	v_cndmask_b32_e64 v11, 0, -1, s[0:1]
	v_cmp_eq_u32_e64 s[0:1], s29, v10
	v_cndmask_b32_e64 v10, v12, v11, s[0:1]
	v_add_co_u32_e64 v11, s[0:1], 2, v8
	v_addc_co_u32_e64 v12, s[0:1], 0, v9, s[0:1]
	v_add_co_u32_e64 v13, s[0:1], 1, v8
	v_addc_co_u32_e64 v14, s[0:1], 0, v9, s[0:1]
	v_subb_co_u32_e32 v3, vcc, v7, v3, vcc
	v_cmp_ne_u32_e64 s[0:1], 0, v10
	v_cmp_le_u32_e32 vcc, s29, v3
	v_cndmask_b32_e64 v10, v14, v12, s[0:1]
	v_cndmask_b32_e64 v12, 0, -1, vcc
	v_cmp_le_u32_e32 vcc, s28, v2
	v_cndmask_b32_e64 v2, 0, -1, vcc
	v_cmp_eq_u32_e32 vcc, s29, v3
	v_cndmask_b32_e32 v2, v12, v2, vcc
	v_cmp_ne_u32_e32 vcc, 0, v2
	v_cndmask_b32_e64 v2, v13, v11, s[0:1]
	v_cndmask_b32_e32 v43, v9, v10, vcc
	v_cndmask_b32_e32 v42, v8, v2, vcc
.LBB0_4:                                ;   in Loop: Header=BB0_2 Depth=1
	s_andn2_saveexec_b64 s[0:1], s[30:31]
	s_cbranch_execz .LBB0_6
; %bb.5:                                ;   in Loop: Header=BB0_2 Depth=1
	v_cvt_f32_u32_e32 v2, s28
	s_sub_i32 s30, 0, s28
	v_mov_b32_e32 v43, v1
	v_rcp_iflag_f32_e32 v2, v2
	v_mul_f32_e32 v2, 0x4f7ffffe, v2
	v_cvt_u32_f32_e32 v2, v2
	v_mul_lo_u32 v3, s30, v2
	v_mul_hi_u32 v3, v2, v3
	v_add_u32_e32 v2, v2, v3
	v_mul_hi_u32 v2, v6, v2
	v_mul_lo_u32 v3, v2, s28
	v_add_u32_e32 v8, 1, v2
	v_sub_u32_e32 v3, v6, v3
	v_subrev_u32_e32 v9, s28, v3
	v_cmp_le_u32_e32 vcc, s28, v3
	v_cndmask_b32_e32 v3, v3, v9, vcc
	v_cndmask_b32_e32 v2, v2, v8, vcc
	v_add_u32_e32 v8, 1, v2
	v_cmp_le_u32_e32 vcc, s28, v3
	v_cndmask_b32_e32 v42, v2, v8, vcc
.LBB0_6:                                ;   in Loop: Header=BB0_2 Depth=1
	s_or_b64 exec, exec, s[0:1]
	v_mul_lo_u32 v8, v43, s28
	v_mul_lo_u32 v9, v42, s29
	v_mad_u64_u32 v[2:3], s[0:1], v42, s28, 0
	s_load_dwordx2 s[0:1], s[22:23], 0x0
	s_load_dwordx2 s[28:29], s[6:7], 0x0
	v_add3_u32 v3, v3, v9, v8
	v_sub_co_u32_e32 v2, vcc, v6, v2
	v_subb_co_u32_e32 v3, vcc, v7, v3, vcc
	s_waitcnt lgkmcnt(0)
	v_mul_lo_u32 v6, s0, v3
	v_mul_lo_u32 v7, s1, v2
	v_mad_u64_u32 v[4:5], s[0:1], s0, v2, v[4:5]
	v_mul_lo_u32 v3, s28, v3
	v_mul_lo_u32 v8, s29, v2
	v_mad_u64_u32 v[40:41], s[0:1], s28, v2, v[40:41]
	s_add_u32 s26, s26, 1
	s_addc_u32 s27, s27, 0
	s_add_u32 s6, s6, 8
	v_add3_u32 v41, v8, v41, v3
	s_addc_u32 s7, s7, 0
	v_mov_b32_e32 v2, s14
	s_add_u32 s22, s22, 8
	v_mov_b32_e32 v3, s15
	s_addc_u32 s23, s23, 0
	v_cmp_ge_u64_e32 vcc, s[26:27], v[2:3]
	s_add_u32 s24, s24, 8
	v_add3_u32 v5, v7, v5, v6
	s_addc_u32 s25, s25, 0
	s_cbranch_vccnz .LBB0_9
; %bb.7:                                ;   in Loop: Header=BB0_2 Depth=1
	v_mov_b32_e32 v6, v42
	v_mov_b32_e32 v7, v43
	s_branch .LBB0_2
.LBB0_8:
	v_mov_b32_e32 v41, v5
	v_mov_b32_e32 v43, v7
	;; [unrolled: 1-line block ×4, first 2 shown]
.LBB0_9:
	s_load_dwordx2 s[0:1], s[4:5], 0x28
	s_lshl_b64 s[14:15], s[14:15], 3
	s_add_u32 s4, s18, s14
	s_addc_u32 s5, s19, s15
                                        ; implicit-def: $vgpr44
                                        ; implicit-def: $vgpr45
	s_waitcnt lgkmcnt(0)
	v_cmp_gt_u64_e32 vcc, s[0:1], v[42:43]
	v_cmp_le_u64_e64 s[0:1], s[0:1], v[42:43]
	s_and_saveexec_b64 s[6:7], s[0:1]
	s_xor_b64 s[0:1], exec, s[6:7]
; %bb.10:
	s_mov_b32 s6, 0x10624de
	v_mul_hi_u32 v1, v0, s6
                                        ; implicit-def: $vgpr4_vgpr5
	v_mul_u32_u24_e32 v1, 0xfa, v1
	v_sub_u32_e32 v44, v0, v1
	v_add_u32_e32 v45, 0xfa, v44
                                        ; implicit-def: $vgpr0
; %bb.11:
	s_or_saveexec_b64 s[6:7], s[0:1]
                                        ; implicit-def: $vgpr2_vgpr3
                                        ; implicit-def: $vgpr26_vgpr27
                                        ; implicit-def: $vgpr6_vgpr7
                                        ; implicit-def: $vgpr22_vgpr23
                                        ; implicit-def: $vgpr14_vgpr15
                                        ; implicit-def: $vgpr34_vgpr35
                                        ; implicit-def: $vgpr10_vgpr11
                                        ; implicit-def: $vgpr30_vgpr31
                                        ; implicit-def: $vgpr18_vgpr19
                                        ; implicit-def: $vgpr38_vgpr39
	s_xor_b64 exec, exec, s[6:7]
	s_cbranch_execz .LBB0_13
; %bb.12:
	s_add_u32 s0, s16, s14
	s_mov_b32 s14, 0x10624de
	s_addc_u32 s1, s17, s15
	v_mul_hi_u32 v1, v0, s14
	s_load_dwordx2 s[0:1], s[0:1], 0x0
	v_mul_u32_u24_e32 v1, 0xfa, v1
	v_sub_u32_e32 v44, v0, v1
	s_waitcnt lgkmcnt(0)
	v_mul_lo_u32 v8, s1, v42
	v_mad_u64_u32 v[0:1], s[14:15], s20, v44, 0
	v_mul_lo_u32 v9, s0, v43
	v_mad_u64_u32 v[2:3], s[0:1], s0, v42, 0
	v_add_u32_e32 v45, 0xfa, v44
	v_mad_u64_u32 v[6:7], s[0:1], s21, v44, v[1:2]
	v_add3_u32 v3, v3, v9, v8
	v_lshlrev_b64 v[2:3], 4, v[2:3]
	v_mov_b32_e32 v1, v6
	v_mov_b32_e32 v6, s9
	v_add_co_u32_e64 v7, s[0:1], s8, v2
	v_addc_co_u32_e64 v6, s[0:1], v6, v3, s[0:1]
	v_lshlrev_b64 v[2:3], 4, v[4:5]
	v_mad_u64_u32 v[4:5], s[0:1], s20, v45, 0
	v_add_co_u32_e64 v8, s[0:1], v7, v2
	v_mov_b32_e32 v2, v5
	v_addc_co_u32_e64 v9, s[0:1], v6, v3, s[0:1]
	v_mad_u64_u32 v[2:3], s[0:1], s21, v45, v[2:3]
	v_add_u32_e32 v3, 0x1f4, v44
	v_mad_u64_u32 v[6:7], s[0:1], s20, v3, 0
	v_lshlrev_b64 v[0:1], 4, v[0:1]
	v_mov_b32_e32 v5, v2
	v_add_co_u32_e64 v46, s[0:1], v8, v0
	v_mov_b32_e32 v2, v7
	v_addc_co_u32_e64 v47, s[0:1], v9, v1, s[0:1]
	v_lshlrev_b64 v[0:1], 4, v[4:5]
	v_mad_u64_u32 v[2:3], s[0:1], s21, v3, v[2:3]
	v_add_u32_e32 v5, 0x2ee, v44
	v_mad_u64_u32 v[3:4], s[0:1], s20, v5, 0
	v_add_co_u32_e64 v48, s[0:1], v8, v0
	v_mov_b32_e32 v7, v2
	v_mov_b32_e32 v2, v4
	v_addc_co_u32_e64 v49, s[0:1], v9, v1, s[0:1]
	v_lshlrev_b64 v[0:1], 4, v[6:7]
	v_mad_u64_u32 v[4:5], s[0:1], s21, v5, v[2:3]
	v_add_u32_e32 v7, 0x3e8, v44
	v_mad_u64_u32 v[5:6], s[0:1], s20, v7, 0
	v_add_co_u32_e64 v50, s[0:1], v8, v0
	v_mov_b32_e32 v2, v6
	v_addc_co_u32_e64 v51, s[0:1], v9, v1, s[0:1]
	v_lshlrev_b64 v[0:1], 4, v[3:4]
	v_mad_u64_u32 v[2:3], s[0:1], s21, v7, v[2:3]
	v_add_u32_e32 v7, 0x4e2, v44
	v_mad_u64_u32 v[3:4], s[0:1], s20, v7, 0
	v_add_co_u32_e64 v52, s[0:1], v8, v0
	v_mov_b32_e32 v6, v2
	v_mov_b32_e32 v2, v4
	v_addc_co_u32_e64 v53, s[0:1], v9, v1, s[0:1]
	v_lshlrev_b64 v[0:1], 4, v[5:6]
	v_mad_u64_u32 v[4:5], s[0:1], s21, v7, v[2:3]
	v_add_u32_e32 v7, 0x5dc, v44
	v_mad_u64_u32 v[5:6], s[0:1], s20, v7, 0
	;; [unrolled: 15-line block ×3, first 2 shown]
	v_add_co_u32_e64 v58, s[0:1], v8, v0
	v_mov_b32_e32 v2, v6
	v_addc_co_u32_e64 v59, s[0:1], v9, v1, s[0:1]
	v_lshlrev_b64 v[0:1], 4, v[3:4]
	v_mad_u64_u32 v[2:3], s[0:1], s21, v7, v[2:3]
	v_add_u32_e32 v7, 0x8ca, v44
	v_mad_u64_u32 v[3:4], s[0:1], s20, v7, 0
	v_add_co_u32_e64 v60, s[0:1], v8, v0
	v_mov_b32_e32 v6, v2
	v_mov_b32_e32 v2, v4
	v_addc_co_u32_e64 v61, s[0:1], v9, v1, s[0:1]
	v_lshlrev_b64 v[0:1], 4, v[5:6]
	v_mad_u64_u32 v[4:5], s[0:1], s21, v7, v[2:3]
	v_add_co_u32_e64 v62, s[0:1], v8, v0
	v_addc_co_u32_e64 v63, s[0:1], v9, v1, s[0:1]
	v_lshlrev_b64 v[0:1], 4, v[3:4]
	v_add_co_u32_e64 v64, s[0:1], v8, v0
	v_addc_co_u32_e64 v65, s[0:1], v9, v1, s[0:1]
	global_load_dwordx4 v[36:39], v[46:47], off
	global_load_dwordx4 v[16:19], v[48:49], off
	;; [unrolled: 1-line block ×10, first 2 shown]
.LBB0_13:
	s_or_b64 exec, exec, s[6:7]
	s_waitcnt vmcnt(7)
	v_add_f64 v[46:47], v[28:29], v[36:37]
	s_waitcnt vmcnt(3)
	v_add_f64 v[48:49], v[20:21], v[32:33]
	s_waitcnt vmcnt(1)
	v_add_f64 v[50:51], v[30:31], -v[26:27]
	v_add_f64 v[56:57], v[24:25], v[28:29]
	s_mov_b32 s6, 0x134454ff
	s_mov_b32 s7, 0x3fee6f0e
	;; [unrolled: 1-line block ×4, first 2 shown]
	v_add_f64 v[46:47], v[32:33], v[46:47]
	v_fma_f64 v[48:49], v[48:49], -0.5, v[36:37]
	v_add_f64 v[52:53], v[34:35], -v[22:23]
	v_add_f64 v[54:55], v[28:29], -v[32:33]
	;; [unrolled: 1-line block ×3, first 2 shown]
	v_fma_f64 v[56:57], v[56:57], -0.5, v[36:37]
	s_mov_b32 s0, 0x4755a5e
	s_mov_b32 s1, 0x3fe2cf23
	v_add_f64 v[46:47], v[20:21], v[46:47]
	v_fma_f64 v[60:61], v[50:51], s[6:7], v[48:49]
	v_fma_f64 v[48:49], v[50:51], s[14:15], v[48:49]
	s_mov_b32 s9, 0xbfe2cf23
	s_mov_b32 s8, s0
	v_add_f64 v[54:55], v[58:59], v[54:55]
	v_add_f64 v[58:59], v[30:31], v[38:39]
	v_fma_f64 v[62:63], v[52:53], s[14:15], v[56:57]
	v_add_f64 v[36:37], v[24:25], v[46:47]
	v_fma_f64 v[46:47], v[52:53], s[0:1], v[60:61]
	v_add_f64 v[60:61], v[22:23], v[34:35]
	v_add_f64 v[64:65], v[32:33], -v[28:29]
	v_add_f64 v[66:67], v[20:21], -v[24:25]
	v_fma_f64 v[48:49], v[52:53], s[8:9], v[48:49]
	v_fma_f64 v[52:53], v[52:53], s[6:7], v[56:57]
	s_load_dwordx2 s[16:17], s[4:5], 0x0
	s_mov_b32 s4, 0x372fe950
	s_mov_b32 s5, 0x3fd3c6ef
	v_add_f64 v[56:57], v[34:35], v[58:59]
	v_fma_f64 v[58:59], v[60:61], -0.5, v[38:39]
	v_add_f64 v[60:61], v[28:29], -v[24:25]
	v_fma_f64 v[62:63], v[50:51], s[0:1], v[62:63]
	v_add_f64 v[64:65], v[66:67], v[64:65]
	v_fma_f64 v[28:29], v[54:55], s[4:5], v[46:47]
	v_fma_f64 v[46:47], v[50:51], s[8:9], v[52:53]
	v_add_f64 v[50:51], v[26:27], v[30:31]
	v_fma_f64 v[24:25], v[54:55], s[4:5], v[48:49]
	v_add_f64 v[48:49], v[22:23], v[56:57]
	v_fma_f64 v[52:53], v[60:61], s[14:15], v[58:59]
	v_add_f64 v[32:33], v[32:33], -v[20:21]
	v_fma_f64 v[20:21], v[64:65], s[4:5], v[62:63]
	v_add_f64 v[54:55], v[4:5], v[12:13]
	v_add_f64 v[56:57], v[30:31], -v[34:35]
	v_add_f64 v[62:63], v[26:27], -v[22:23]
	v_fma_f64 v[38:39], v[50:51], -0.5, v[38:39]
	v_fma_f64 v[46:47], v[64:65], s[4:5], v[46:47]
	s_waitcnt vmcnt(0)
	v_add_f64 v[64:65], v[10:11], -v[2:3]
	v_fma_f64 v[50:51], v[32:33], s[8:9], v[52:53]
	v_add_f64 v[52:53], v[8:9], v[16:17]
	v_fma_f64 v[54:55], v[54:55], -0.5, v[16:17]
	v_fma_f64 v[58:59], v[60:61], s[6:7], v[58:59]
	v_add_f64 v[56:57], v[62:63], v[56:57]
	v_fma_f64 v[62:63], v[32:33], s[6:7], v[38:39]
	v_add_f64 v[48:49], v[26:27], v[48:49]
	v_add_f64 v[30:31], v[34:35], -v[30:31]
	v_add_f64 v[22:23], v[22:23], -v[26:27]
	v_fma_f64 v[26:27], v[32:33], s[14:15], v[38:39]
	v_add_f64 v[34:35], v[12:13], v[52:53]
	v_fma_f64 v[38:39], v[64:65], s[6:7], v[54:55]
	v_add_f64 v[52:53], v[14:15], -v[6:7]
	v_add_f64 v[66:67], v[8:9], -v[12:13]
	;; [unrolled: 1-line block ×3, first 2 shown]
	v_fma_f64 v[32:33], v[32:33], s[0:1], v[58:59]
	v_fma_f64 v[58:59], v[60:61], s[8:9], v[62:63]
	v_add_f64 v[62:63], v[0:1], v[8:9]
	v_add_f64 v[22:23], v[22:23], v[30:31]
	v_fma_f64 v[26:27], v[60:61], s[0:1], v[26:27]
	v_add_f64 v[30:31], v[4:5], v[34:35]
	v_fma_f64 v[34:35], v[52:53], s[0:1], v[38:39]
	v_add_f64 v[38:39], v[68:69], v[66:67]
	v_fma_f64 v[54:55], v[64:65], s[14:15], v[54:55]
	v_fma_f64 v[50:51], v[56:57], s[4:5], v[50:51]
	v_fma_f64 v[16:17], v[62:63], -0.5, v[16:17]
	v_fma_f64 v[56:57], v[56:57], s[4:5], v[32:33]
	v_fma_f64 v[58:59], v[22:23], s[4:5], v[58:59]
	;; [unrolled: 1-line block ×3, first 2 shown]
	v_add_f64 v[62:63], v[10:11], v[18:19]
	v_fma_f64 v[22:23], v[38:39], s[4:5], v[34:35]
	v_fma_f64 v[32:33], v[52:53], s[8:9], v[54:55]
	v_add_f64 v[68:69], v[2:3], v[10:11]
	v_fma_f64 v[34:35], v[52:53], s[14:15], v[16:17]
	v_add_f64 v[26:27], v[0:1], v[30:31]
	v_add_f64 v[30:31], v[6:7], v[14:15]
	v_add_f64 v[54:55], v[12:13], -v[8:9]
	v_add_f64 v[66:67], v[4:5], -v[0:1]
	v_fma_f64 v[16:17], v[52:53], s[6:7], v[16:17]
	v_add_f64 v[0:1], v[8:9], -v[0:1]
	v_fma_f64 v[8:9], v[38:39], s[4:5], v[32:33]
	v_fma_f64 v[32:33], v[64:65], s[0:1], v[34:35]
	v_add_f64 v[34:35], v[14:15], v[62:63]
	v_add_f64 v[4:5], v[12:13], -v[4:5]
	v_fma_f64 v[12:13], v[68:69], -0.5, v[18:19]
	v_fma_f64 v[30:31], v[30:31], -0.5, v[18:19]
	v_add_f64 v[18:19], v[66:67], v[54:55]
	v_fma_f64 v[16:17], v[64:65], s[8:9], v[16:17]
	v_add_f64 v[52:53], v[10:11], -v[14:15]
	v_add_f64 v[54:55], v[2:3], -v[6:7]
	v_add_f64 v[34:35], v[6:7], v[34:35]
	v_add_f64 v[10:11], v[14:15], -v[10:11]
	v_fma_f64 v[62:63], v[4:5], s[6:7], v[12:13]
	v_add_f64 v[6:7], v[6:7], -v[2:3]
	v_fma_f64 v[12:13], v[4:5], s[14:15], v[12:13]
	v_fma_f64 v[38:39], v[0:1], s[14:15], v[30:31]
	;; [unrolled: 1-line block ×5, first 2 shown]
	s_mov_b32 s18, 0x9b97f4a8
	v_fma_f64 v[18:19], v[0:1], s[8:9], v[62:63]
	v_add_f64 v[6:7], v[6:7], v[10:11]
	v_fma_f64 v[0:1], v[0:1], s[0:1], v[12:13]
	v_fma_f64 v[14:15], v[4:5], s[8:9], v[38:39]
	v_add_f64 v[38:39], v[54:55], v[52:53]
	v_fma_f64 v[4:5], v[4:5], s[0:1], v[30:31]
	s_mov_b32 s19, 0x3fe9e377
	v_add_f64 v[34:35], v[2:3], v[34:35]
	v_mul_f64 v[2:3], v[22:23], s[18:19]
	v_fma_f64 v[12:13], v[6:7], s[4:5], v[18:19]
	v_fma_f64 v[6:7], v[6:7], s[4:5], v[0:1]
	v_mul_f64 v[18:19], v[16:17], s[4:5]
	v_fma_f64 v[10:11], v[38:39], s[4:5], v[14:15]
	v_fma_f64 v[4:5], v[38:39], s[4:5], v[4:5]
	v_mul_f64 v[14:15], v[32:33], s[4:5]
	v_mul_f64 v[30:31], v[8:9], s[18:19]
	;; [unrolled: 1-line block ×5, first 2 shown]
	v_fma_f64 v[64:65], v[6:7], s[6:7], -v[18:19]
	v_fma_f64 v[38:39], v[10:11], s[0:1], v[2:3]
	v_mul_f64 v[54:55], v[4:5], s[18:19]
	v_fma_f64 v[62:63], v[12:13], s[6:7], v[14:15]
	v_fma_f64 v[66:67], v[4:5], s[0:1], -v[30:31]
	v_fma_f64 v[68:69], v[10:11], s[18:19], v[22:23]
	v_fma_f64 v[70:71], v[12:13], s[4:5], v[32:33]
	v_fma_f64 v[52:53], v[16:17], s[14:15], -v[52:53]
	v_add_f64 v[0:1], v[26:27], v[36:37]
	v_add_f64 v[2:3], v[28:29], v[38:39]
	v_fma_f64 v[54:55], v[8:9], s[8:9], -v[54:55]
	v_add_f64 v[4:5], v[20:21], v[62:63]
	v_add_f64 v[6:7], v[46:47], v[64:65]
	;; [unrolled: 1-line block ×3, first 2 shown]
	v_add_f64 v[10:11], v[36:37], -v[26:27]
	v_add_f64 v[16:17], v[28:29], -v[38:39]
	;; [unrolled: 1-line block ×5, first 2 shown]
	v_add_f64 v[12:13], v[34:35], v[48:49]
	v_add_f64 v[14:15], v[50:51], v[68:69]
	;; [unrolled: 1-line block ×4, first 2 shown]
	v_mul_u32_u24_e32 v20, 10, v44
	v_add_f64 v[22:23], v[56:57], v[54:55]
	v_add_f64 v[24:25], v[48:49], -v[34:35]
	v_lshl_add_u32 v21, v20, 3, 0
	s_movk_i32 s20, 0xffb8
	v_add_f64 v[34:35], v[50:51], -v[68:69]
	v_add_f64 v[36:37], v[58:59], -v[70:71]
	ds_write_b128 v21, v[0:3]
	ds_write_b128 v21, v[4:7] offset:16
	ds_write_b128 v21, v[8:11] offset:32
	;; [unrolled: 1-line block ×4, first 2 shown]
	v_mad_i32_i24 v16, v44, s20, v21
	s_movk_i32 s20, 0xcd
	v_add_f64 v[46:47], v[60:61], -v[52:53]
	v_add_f64 v[48:49], v[56:57], -v[54:55]
	v_mul_lo_u16_sdwa v3, v44, s20 dst_sel:DWORD dst_unused:UNUSED_PAD src0_sel:BYTE_0 src1_sel:DWORD
	v_lshrrev_b16_e32 v3, 11, v3
	v_mul_lo_u16_e32 v7, 10, v3
	v_add_u32_e32 v2, 0xf80, v16
	v_add_u32_e32 v4, 0x1f40, v16
	;; [unrolled: 1-line block ×4, first 2 shown]
	v_sub_u16_e32 v7, v44, v7
	v_mov_b32_e32 v8, 6
	s_waitcnt lgkmcnt(0)
	s_barrier
	ds_read2_b64 v[26:29], v2 offset0:4 offset1:254
	ds_read2_b64 v[50:53], v4 offset1:250
	ds_read2_b64 v[54:57], v5 offset0:4 offset1:254
	ds_read2_b64 v[58:61], v6 offset1:250
	v_lshl_add_u32 v20, v45, 3, 0
	ds_read_b64 v[17:18], v16
	ds_read_b64 v[0:1], v20
	s_waitcnt lgkmcnt(0)
	s_barrier
	ds_write_b128 v21, v[12:15]
	ds_write_b128 v21, v[30:33] offset:16
	ds_write_b128 v21, v[22:25] offset:32
	;; [unrolled: 1-line block ×4, first 2 shown]
	v_lshlrev_b32_sdwa v14, v8, v7 dst_sel:DWORD dst_unused:UNUSED_PAD src0_sel:DWORD src1_sel:BYTE_0
	s_waitcnt lgkmcnt(0)
	s_barrier
	global_load_dwordx4 v[10:13], v14, s[12:13]
	s_mov_b32 s20, 0xcccd
	v_mul_u32_u24_sdwa v8, v45, s20 dst_sel:DWORD dst_unused:UNUSED_PAD src0_sel:WORD_0 src1_sel:DWORD
	v_lshrrev_b32_e32 v8, 19, v8
	v_mul_lo_u16_e32 v9, 10, v8
	v_sub_u16_e32 v9, v45, v9
	v_lshlrev_b32_e32 v15, 6, v9
	global_load_dwordx4 v[22:25], v15, s[12:13]
	global_load_dwordx4 v[30:33], v14, s[12:13] offset:16
	global_load_dwordx4 v[34:37], v14, s[12:13] offset:32
	;; [unrolled: 1-line block ×6, first 2 shown]
	ds_read2_b64 v[74:77], v2 offset0:4 offset1:254
	s_waitcnt vmcnt(7) lgkmcnt(0)
	v_mul_f64 v[14:15], v[74:75], v[12:13]
	v_mul_f64 v[12:13], v[26:27], v[12:13]
	s_waitcnt vmcnt(6)
	v_mul_f64 v[38:39], v[76:77], v[24:25]
	v_mul_f64 v[78:79], v[28:29], v[24:25]
	v_fma_f64 v[14:15], v[26:27], v[10:11], -v[14:15]
	v_fma_f64 v[74:75], v[74:75], v[10:11], v[12:13]
	ds_read2_b64 v[10:13], v4 offset1:250
	ds_read2_b64 v[24:27], v5 offset0:4 offset1:254
	v_fma_f64 v[28:29], v[28:29], v[22:23], -v[38:39]
	v_fma_f64 v[76:77], v[76:77], v[22:23], v[78:79]
	s_waitcnt vmcnt(5)
	v_mul_f64 v[22:23], v[50:51], v[32:33]
	s_waitcnt lgkmcnt(1)
	v_mul_f64 v[38:39], v[10:11], v[32:33]
	s_waitcnt vmcnt(4) lgkmcnt(0)
	v_mul_f64 v[32:33], v[24:25], v[36:37]
	v_mul_f64 v[36:37], v[54:55], v[36:37]
	v_fma_f64 v[10:11], v[10:11], v[30:31], v[22:23]
	v_fma_f64 v[38:39], v[50:51], v[30:31], -v[38:39]
	v_fma_f64 v[32:33], v[54:55], v[34:35], -v[32:33]
	v_fma_f64 v[34:35], v[24:25], v[34:35], v[36:37]
	ds_read2_b64 v[22:25], v6 offset1:250
	s_waitcnt vmcnt(3)
	v_mul_f64 v[30:31], v[12:13], v[48:49]
	v_mul_f64 v[48:49], v[52:53], v[48:49]
	s_waitcnt vmcnt(2)
	v_mul_f64 v[36:37], v[58:59], v[64:65]
	s_waitcnt lgkmcnt(0)
	v_mul_f64 v[50:51], v[22:23], v[64:65]
	v_add_f64 v[78:79], v[38:39], -v[14:15]
	v_fma_f64 v[30:31], v[52:53], v[46:47], -v[30:31]
	v_fma_f64 v[12:13], v[12:13], v[46:47], v[48:49]
	s_waitcnt vmcnt(1)
	v_mul_f64 v[48:49], v[26:27], v[68:69]
	v_add_f64 v[52:53], v[38:39], v[32:33]
	v_fma_f64 v[22:23], v[22:23], v[62:63], v[36:37]
	v_fma_f64 v[50:51], v[58:59], v[62:63], -v[50:51]
	v_add_f64 v[46:47], v[17:18], v[14:15]
	v_mul_f64 v[36:37], v[56:57], v[68:69]
	v_add_f64 v[68:69], v[10:11], -v[34:35]
	ds_read_b64 v[62:63], v16
	ds_read_b64 v[64:65], v20
	v_fma_f64 v[48:49], v[56:57], v[66:67], -v[48:49]
	v_fma_f64 v[52:53], v[52:53], -0.5, v[17:18]
	v_add_f64 v[54:55], v[74:75], -v[22:23]
	s_waitcnt vmcnt(0)
	v_mul_f64 v[56:57], v[60:61], v[72:73]
	v_add_f64 v[58:59], v[14:15], v[50:51]
	v_add_f64 v[46:47], v[46:47], v[38:39]
	v_fma_f64 v[26:27], v[26:27], v[66:67], v[36:37]
	v_mul_f64 v[36:37], v[24:25], v[72:73]
	v_add_f64 v[80:81], v[32:33], -v[50:51]
	s_waitcnt lgkmcnt(0)
	v_fma_f64 v[66:67], v[54:55], s[6:7], v[52:53]
	v_fma_f64 v[24:25], v[24:25], v[70:71], v[56:57]
	v_fma_f64 v[17:18], v[58:59], -0.5, v[17:18]
	v_add_f64 v[56:57], v[14:15], -v[38:39]
	v_add_f64 v[58:59], v[50:51], -v[32:33]
	v_fma_f64 v[52:53], v[54:55], s[14:15], v[52:53]
	v_add_f64 v[46:47], v[46:47], v[32:33]
	v_fma_f64 v[36:37], v[60:61], v[70:71], -v[36:37]
	v_fma_f64 v[60:61], v[68:69], s[0:1], v[66:67]
	v_add_f64 v[66:67], v[62:63], v[74:75]
	v_fma_f64 v[72:73], v[68:69], s[14:15], v[17:18]
	v_add_f64 v[70:71], v[10:11], v[34:35]
	v_add_f64 v[56:57], v[56:57], v[58:59]
	v_fma_f64 v[52:53], v[68:69], s[8:9], v[52:53]
	v_add_f64 v[46:47], v[46:47], v[50:51]
	v_fma_f64 v[17:18], v[68:69], s[6:7], v[17:18]
	v_add_f64 v[14:15], v[14:15], -v[50:51]
	v_add_f64 v[58:59], v[66:67], v[10:11]
	v_fma_f64 v[50:51], v[54:55], s[0:1], v[72:73]
	v_add_f64 v[68:69], v[78:79], v[80:81]
	v_fma_f64 v[60:61], v[56:57], s[4:5], v[60:61]
	v_fma_f64 v[52:53], v[56:57], s[4:5], v[52:53]
	v_add_f64 v[56:57], v[74:75], v[22:23]
	v_fma_f64 v[66:67], v[70:71], -0.5, v[62:63]
	v_fma_f64 v[17:18], v[54:55], s[8:9], v[17:18]
	v_add_f64 v[54:55], v[58:59], v[34:35]
	v_add_f64 v[32:33], v[38:39], -v[32:33]
	v_fma_f64 v[38:39], v[68:69], s[4:5], v[50:51]
	v_add_f64 v[50:51], v[30:31], v[48:49]
	v_add_f64 v[70:71], v[74:75], -v[10:11]
	v_add_f64 v[72:73], v[22:23], -v[34:35]
	v_fma_f64 v[56:57], v[56:57], -0.5, v[62:63]
	v_fma_f64 v[58:59], v[14:15], s[14:15], v[66:67]
	v_fma_f64 v[17:18], v[68:69], s[4:5], v[17:18]
	v_add_f64 v[54:55], v[54:55], v[22:23]
	v_add_f64 v[62:63], v[0:1], v[28:29]
	v_fma_f64 v[50:51], v[50:51], -0.5, v[0:1]
	v_add_f64 v[68:69], v[76:77], -v[24:25]
	v_add_f64 v[70:71], v[70:71], v[72:73]
	v_fma_f64 v[66:67], v[14:15], s[6:7], v[66:67]
	v_fma_f64 v[72:73], v[32:33], s[6:7], v[56:57]
	v_add_f64 v[10:11], v[10:11], -v[74:75]
	v_add_f64 v[22:23], v[34:35], -v[22:23]
	v_fma_f64 v[34:35], v[32:33], s[14:15], v[56:57]
	v_fma_f64 v[58:59], v[32:33], s[8:9], v[58:59]
	v_add_f64 v[56:57], v[62:63], v[30:31]
	v_fma_f64 v[62:63], v[68:69], s[6:7], v[50:51]
	v_add_f64 v[74:75], v[12:13], -v[26:27]
	v_add_f64 v[78:79], v[28:29], -v[30:31]
	;; [unrolled: 1-line block ×3, first 2 shown]
	v_fma_f64 v[32:33], v[32:33], s[0:1], v[66:67]
	v_add_f64 v[66:67], v[28:29], v[36:37]
	v_fma_f64 v[72:73], v[14:15], s[8:9], v[72:73]
	v_add_f64 v[10:11], v[10:11], v[22:23]
	;; [unrolled: 2-line block ×4, first 2 shown]
	v_fma_f64 v[58:59], v[70:71], s[4:5], v[58:59]
	v_fma_f64 v[0:1], v[66:67], -0.5, v[0:1]
	v_fma_f64 v[32:33], v[70:71], s[4:5], v[32:33]
	v_fma_f64 v[62:63], v[10:11], s[4:5], v[72:73]
	v_fma_f64 v[66:67], v[10:11], s[4:5], v[14:15]
	v_add_f64 v[14:15], v[12:13], v[26:27]
	v_add_f64 v[72:73], v[76:77], v[24:25]
	;; [unrolled: 1-line block ×3, first 2 shown]
	v_fma_f64 v[22:23], v[56:57], s[4:5], v[34:35]
	v_fma_f64 v[34:35], v[68:69], s[14:15], v[50:51]
	;; [unrolled: 1-line block ×3, first 2 shown]
	v_add_f64 v[70:71], v[30:31], -v[28:29]
	v_add_f64 v[78:79], v[48:49], -v[36:37]
	v_add_f64 v[80:81], v[64:65], v[76:77]
	v_fma_f64 v[14:15], v[14:15], -0.5, v[64:65]
	v_add_f64 v[28:29], v[28:29], -v[36:37]
	v_add_f64 v[30:31], v[30:31], -v[48:49]
	v_fma_f64 v[48:49], v[72:73], -0.5, v[64:65]
	v_fma_f64 v[0:1], v[74:75], s[6:7], v[0:1]
	v_fma_f64 v[34:35], v[74:75], s[8:9], v[34:35]
	;; [unrolled: 1-line block ×3, first 2 shown]
	v_add_f64 v[50:51], v[70:71], v[78:79]
	v_add_f64 v[64:65], v[80:81], v[12:13]
	v_fma_f64 v[70:71], v[28:29], s[14:15], v[14:15]
	v_add_f64 v[72:73], v[76:77], -v[12:13]
	v_add_f64 v[74:75], v[24:25], -v[26:27]
	v_fma_f64 v[14:15], v[28:29], s[6:7], v[14:15]
	v_fma_f64 v[78:79], v[30:31], s[6:7], v[48:49]
	v_add_f64 v[12:13], v[12:13], -v[76:77]
	v_add_f64 v[76:77], v[26:27], -v[24:25]
	v_fma_f64 v[48:49], v[30:31], s[14:15], v[48:49]
	v_fma_f64 v[0:1], v[68:69], s[8:9], v[0:1]
	v_add_f64 v[26:27], v[64:65], v[26:27]
	v_fma_f64 v[64:65], v[30:31], s[8:9], v[70:71]
	v_add_f64 v[68:69], v[72:73], v[74:75]
	v_fma_f64 v[14:15], v[30:31], s[0:1], v[14:15]
	v_fma_f64 v[30:31], v[28:29], s[8:9], v[78:79]
	v_add_f64 v[12:13], v[12:13], v[76:77]
	v_fma_f64 v[28:29], v[28:29], s[0:1], v[48:49]
	v_fma_f64 v[36:37], v[50:51], s[4:5], v[36:37]
	;; [unrolled: 1-line block ×4, first 2 shown]
	v_add_f64 v[50:51], v[26:27], v[24:25]
	v_fma_f64 v[56:57], v[68:69], s[4:5], v[64:65]
	v_fma_f64 v[64:65], v[68:69], s[4:5], v[14:15]
	;; [unrolled: 1-line block ×4, first 2 shown]
	v_mov_b32_e32 v0, 3
	v_mul_u32_u24_e32 v1, 0x190, v3
	v_lshlrev_b32_sdwa v3, v0, v7 dst_sel:DWORD dst_unused:UNUSED_PAD src0_sel:DWORD src1_sel:BYTE_0
	v_add3_u32 v1, 0, v1, v3
	v_mul_u32_u24_e32 v3, 0x190, v8
	v_lshlrev_b32_e32 v7, 3, v9
	v_add3_u32 v3, 0, v3, v7
	s_barrier
	ds_write2_b64 v1, v[46:47], v[60:61] offset1:10
	ds_write2_b64 v1, v[38:39], v[17:18] offset0:20 offset1:30
	ds_write_b64 v1, v[52:53] offset:320
	ds_write2_b64 v3, v[10:11], v[22:23] offset1:10
	ds_write2_b64 v3, v[36:37], v[48:49] offset0:20 offset1:30
	ds_write_b64 v3, v[34:35] offset:320
	s_waitcnt lgkmcnt(0)
	s_barrier
	ds_read_b64 v[17:18], v16
	ds_read_b64 v[38:39], v20
	ds_read2_b64 v[7:10], v2 offset0:4 offset1:254
	ds_read2_b64 v[11:14], v4 offset1:250
	ds_read2_b64 v[22:25], v5 offset0:4 offset1:254
	ds_read2_b64 v[26:29], v6 offset1:250
	s_waitcnt lgkmcnt(0)
	s_barrier
	ds_write2_b64 v1, v[54:55], v[58:59] offset1:10
	ds_write2_b64 v1, v[62:63], v[66:67] offset0:20 offset1:30
	ds_write_b64 v1, v[32:33] offset:320
	ds_write2_b64 v3, v[50:51], v[56:57] offset1:10
	ds_write2_b64 v3, v[30:31], v[68:69] offset0:20 offset1:30
	ds_write_b64 v3, v[64:65] offset:320
	v_mov_b32_e32 v1, 41
	v_mul_lo_u16_sdwa v1, v44, v1 dst_sel:DWORD dst_unused:UNUSED_PAD src0_sel:BYTE_0 src1_sel:DWORD
	v_lshrrev_b16_e32 v3, 11, v1
	v_mul_lo_u16_e32 v1, 50, v3
	v_sub_u16_e32 v1, v44, v1
	v_mov_b32_e32 v15, 9
	v_mul_u32_u24_sdwa v15, v1, v15 dst_sel:DWORD dst_unused:UNUSED_PAD src0_sel:BYTE_0 src1_sel:DWORD
	v_lshlrev_b32_e32 v15, 4, v15
	s_waitcnt lgkmcnt(0)
	s_barrier
	global_load_dwordx4 v[30:33], v15, s[12:13] offset:656
	global_load_dwordx4 v[34:37], v15, s[12:13] offset:672
	;; [unrolled: 1-line block ×9, first 2 shown]
	ds_read2_b64 v[74:77], v2 offset0:4 offset1:254
	ds_read_b64 v[80:81], v20
	v_mul_u32_u24_e32 v3, 0xfa0, v3
	v_lshlrev_b32_sdwa v0, v0, v1 dst_sel:DWORD dst_unused:UNUSED_PAD src0_sel:DWORD src1_sel:BYTE_0
	s_waitcnt vmcnt(8) lgkmcnt(1)
	v_mul_f64 v[78:79], v[74:75], v[32:33]
	v_mul_f64 v[32:33], v[7:8], v[32:33]
	v_fma_f64 v[78:79], v[7:8], v[30:31], -v[78:79]
	s_waitcnt vmcnt(7)
	v_mul_f64 v[7:8], v[76:77], v[36:37]
	v_fma_f64 v[74:75], v[74:75], v[30:31], v[32:33]
	v_mul_f64 v[30:31], v[9:10], v[36:37]
	s_waitcnt vmcnt(6) lgkmcnt(0)
	v_mul_f64 v[36:37], v[80:81], v[48:49]
	v_fma_f64 v[82:83], v[9:10], v[34:35], -v[7:8]
	ds_read2_b64 v[7:10], v4 offset1:250
	v_fma_f64 v[76:77], v[76:77], v[34:35], v[30:31]
	v_mul_f64 v[34:35], v[38:39], v[48:49]
	ds_read2_b64 v[30:33], v5 offset0:4 offset1:254
	v_fma_f64 v[38:39], v[38:39], v[46:47], -v[36:37]
	s_waitcnt vmcnt(5) lgkmcnt(1)
	v_mul_f64 v[36:37], v[7:8], v[52:53]
	v_mul_f64 v[48:49], v[11:12], v[52:53]
	s_waitcnt vmcnt(4)
	v_mul_f64 v[52:53], v[9:10], v[56:57]
	v_fma_f64 v[46:47], v[80:81], v[46:47], v[34:35]
	s_waitcnt vmcnt(3) lgkmcnt(0)
	v_mul_f64 v[80:81], v[30:31], v[60:61]
	v_fma_f64 v[11:12], v[11:12], v[50:51], -v[36:37]
	ds_read2_b64 v[34:37], v6 offset1:250
	v_fma_f64 v[7:8], v[7:8], v[50:51], v[48:49]
	v_mul_f64 v[48:49], v[13:14], v[56:57]
	v_fma_f64 v[13:14], v[13:14], v[54:55], -v[52:53]
	s_waitcnt vmcnt(2)
	v_mul_f64 v[52:53], v[26:27], v[64:65]
	v_fma_f64 v[50:51], v[22:23], v[58:59], -v[80:81]
	s_waitcnt lgkmcnt(0)
	v_mul_f64 v[56:57], v[34:35], v[64:65]
	v_mul_f64 v[22:23], v[22:23], v[60:61]
	v_add_f64 v[64:65], v[78:79], -v[11:12]
	v_fma_f64 v[9:10], v[9:10], v[54:55], v[48:49]
	v_add_f64 v[48:49], v[17:18], v[78:79]
	v_fma_f64 v[34:35], v[34:35], v[62:63], v[52:53]
	v_add_f64 v[54:55], v[11:12], v[50:51]
	s_waitcnt vmcnt(1)
	v_mul_f64 v[52:53], v[32:33], v[68:69]
	v_fma_f64 v[26:27], v[26:27], v[62:63], -v[56:57]
	v_mul_f64 v[56:57], v[24:25], v[68:69]
	v_fma_f64 v[22:23], v[30:31], v[58:59], v[22:23]
	ds_read_b64 v[68:69], v16
	v_add_f64 v[48:49], v[48:49], v[11:12]
	v_add_f64 v[60:61], v[74:75], -v[34:35]
	v_fma_f64 v[54:55], v[54:55], -0.5, v[17:18]
	v_fma_f64 v[24:25], v[24:25], v[66:67], -v[52:53]
	v_add_f64 v[52:53], v[78:79], v[26:27]
	v_fma_f64 v[30:31], v[32:33], v[66:67], v[56:57]
	s_waitcnt vmcnt(0)
	v_mul_f64 v[32:33], v[36:37], v[72:73]
	v_mul_f64 v[56:57], v[28:29], v[72:73]
	v_add_f64 v[66:67], v[26:27], -v[50:51]
	v_add_f64 v[48:49], v[48:49], v[50:51]
	v_fma_f64 v[58:59], v[60:61], s[6:7], v[54:55]
	v_add_f64 v[62:63], v[7:8], -v[22:23]
	v_fma_f64 v[17:18], v[52:53], -0.5, v[17:18]
	v_add_f64 v[52:53], v[7:8], v[22:23]
	v_fma_f64 v[28:29], v[28:29], v[70:71], -v[32:33]
	v_fma_f64 v[32:33], v[36:37], v[70:71], v[56:57]
	v_add_f64 v[56:57], v[64:65], v[66:67]
	v_fma_f64 v[54:55], v[60:61], s[14:15], v[54:55]
	v_add_f64 v[64:65], v[11:12], -v[78:79]
	v_add_f64 v[66:67], v[50:51], -v[26:27]
	v_add_f64 v[36:37], v[48:49], v[26:27]
	v_fma_f64 v[48:49], v[62:63], s[0:1], v[58:59]
	v_fma_f64 v[58:59], v[62:63], s[14:15], v[17:18]
	;; [unrolled: 1-line block ×3, first 2 shown]
	s_waitcnt lgkmcnt(0)
	v_add_f64 v[70:71], v[68:69], v[74:75]
	v_fma_f64 v[52:53], v[52:53], -0.5, v[68:69]
	v_add_f64 v[26:27], v[78:79], -v[26:27]
	v_fma_f64 v[54:55], v[62:63], s[8:9], v[54:55]
	v_add_f64 v[62:63], v[64:65], v[66:67]
	v_add_f64 v[64:65], v[74:75], v[34:35]
	v_fma_f64 v[48:49], v[56:57], s[4:5], v[48:49]
	v_fma_f64 v[58:59], v[60:61], s[0:1], v[58:59]
	v_fma_f64 v[17:18], v[60:61], s[8:9], v[17:18]
	v_add_f64 v[60:61], v[70:71], v[7:8]
	v_fma_f64 v[66:67], v[26:27], s[14:15], v[52:53]
	v_add_f64 v[11:12], v[11:12], -v[50:51]
	v_add_f64 v[50:51], v[74:75], -v[7:8]
	;; [unrolled: 1-line block ×3, first 2 shown]
	v_fma_f64 v[54:55], v[56:57], s[4:5], v[54:55]
	v_fma_f64 v[56:57], v[64:65], -0.5, v[68:69]
	v_fma_f64 v[52:53], v[26:27], s[6:7], v[52:53]
	v_add_f64 v[68:69], v[38:39], v[82:83]
	v_add_f64 v[60:61], v[60:61], v[22:23]
	v_fma_f64 v[64:65], v[11:12], s[8:9], v[66:67]
	v_add_f64 v[7:8], v[7:8], -v[74:75]
	v_add_f64 v[50:51], v[50:51], v[70:71]
	v_add_f64 v[22:23], v[22:23], -v[34:35]
	v_fma_f64 v[66:67], v[11:12], s[6:7], v[56:57]
	v_fma_f64 v[58:59], v[62:63], s[4:5], v[58:59]
	;; [unrolled: 1-line block ×3, first 2 shown]
	v_add_f64 v[62:63], v[13:14], v[24:25]
	v_fma_f64 v[52:53], v[11:12], s[0:1], v[52:53]
	v_fma_f64 v[11:12], v[11:12], s[14:15], v[56:57]
	v_add_f64 v[56:57], v[68:69], v[13:14]
	v_add_f64 v[34:35], v[60:61], v[34:35]
	v_fma_f64 v[60:61], v[50:51], s[4:5], v[64:65]
	v_fma_f64 v[64:65], v[26:27], s[8:9], v[66:67]
	v_add_f64 v[7:8], v[7:8], v[22:23]
	v_fma_f64 v[62:63], v[62:63], -0.5, v[38:39]
	v_add_f64 v[70:71], v[76:77], -v[32:33]
	v_fma_f64 v[11:12], v[26:27], s[0:1], v[11:12]
	v_add_f64 v[26:27], v[56:57], v[24:25]
	v_fma_f64 v[50:51], v[50:51], s[4:5], v[52:53]
	v_add_f64 v[56:57], v[82:83], v[28:29]
	v_add_f64 v[68:69], v[82:83], -v[13:14]
	v_fma_f64 v[52:53], v[7:8], s[4:5], v[64:65]
	v_add_f64 v[64:65], v[9:10], v[30:31]
	v_fma_f64 v[22:23], v[70:71], s[6:7], v[62:63]
	v_add_f64 v[72:73], v[28:29], -v[24:25]
	v_fma_f64 v[7:8], v[7:8], s[4:5], v[11:12]
	v_add_f64 v[11:12], v[26:27], v[28:29]
	v_fma_f64 v[26:27], v[70:71], s[14:15], v[62:63]
	v_add_f64 v[62:63], v[76:77], v[32:33]
	v_fma_f64 v[38:39], v[56:57], -0.5, v[38:39]
	v_fma_f64 v[56:57], v[64:65], -0.5, v[46:47]
	v_add_f64 v[64:65], v[82:83], -v[28:29]
	v_add_f64 v[66:67], v[9:10], -v[30:31]
	v_add_f64 v[68:69], v[68:69], v[72:73]
	v_add_f64 v[72:73], v[13:14], -v[82:83]
	v_add_f64 v[28:29], v[24:25], -v[28:29]
	;; [unrolled: 1-line block ×3, first 2 shown]
	v_fma_f64 v[24:25], v[62:63], -0.5, v[46:47]
	v_add_f64 v[78:79], v[76:77], -v[9:10]
	v_fma_f64 v[74:75], v[64:65], s[14:15], v[56:57]
	v_add_f64 v[80:81], v[32:33], -v[30:31]
	v_fma_f64 v[62:63], v[66:67], s[14:15], v[38:39]
	v_add_f64 v[46:47], v[46:47], v[76:77]
	v_add_f64 v[28:29], v[72:73], v[28:29]
	v_add_f64 v[76:77], v[9:10], -v[76:77]
	v_fma_f64 v[72:73], v[13:14], s[6:7], v[24:25]
	v_add_f64 v[82:83], v[30:31], -v[32:33]
	v_fma_f64 v[38:39], v[66:67], s[6:7], v[38:39]
	v_fma_f64 v[24:25], v[13:14], s[14:15], v[24:25]
	;; [unrolled: 1-line block ×5, first 2 shown]
	v_add_f64 v[74:75], v[78:79], v[80:81]
	v_add_f64 v[9:10], v[46:47], v[9:10]
	v_fma_f64 v[46:47], v[64:65], s[6:7], v[56:57]
	v_fma_f64 v[56:57], v[64:65], s[8:9], v[72:73]
	v_add_f64 v[72:73], v[76:77], v[82:83]
	v_fma_f64 v[38:39], v[70:71], s[8:9], v[38:39]
	v_fma_f64 v[24:25], v[64:65], s[0:1], v[24:25]
	;; [unrolled: 1-line block ×4, first 2 shown]
	v_add_f64 v[9:10], v[9:10], v[30:31]
	v_fma_f64 v[13:14], v[13:14], s[0:1], v[46:47]
	v_fma_f64 v[26:27], v[68:69], s[4:5], v[26:27]
	;; [unrolled: 1-line block ×6, first 2 shown]
	v_mul_f64 v[46:47], v[66:67], s[0:1]
	v_fma_f64 v[28:29], v[28:29], s[4:5], v[62:63]
	v_fma_f64 v[13:14], v[74:75], s[4:5], v[13:14]
	v_mul_f64 v[64:65], v[26:27], s[18:19]
	v_mul_f64 v[56:57], v[30:31], s[6:7]
	;; [unrolled: 1-line block ×4, first 2 shown]
	v_add_f64 v[9:10], v[9:10], v[32:33]
	v_fma_f64 v[46:47], v[22:23], s[18:19], v[46:47]
	v_mul_f64 v[68:69], v[28:29], s[14:15]
	v_mul_f64 v[22:23], v[22:23], s[8:9]
	v_mul_f64 v[72:73], v[13:14], s[18:19]
	v_fma_f64 v[28:29], v[28:29], s[4:5], v[56:57]
	v_fma_f64 v[24:25], v[24:25], s[6:7], -v[62:63]
	v_fma_f64 v[13:14], v[13:14], s[0:1], -v[64:65]
	;; [unrolled: 1-line block ×3, first 2 shown]
	v_add_f64 v[32:33], v[36:37], v[11:12]
	v_add_f64 v[56:57], v[48:49], v[46:47]
	v_add_f64 v[11:12], v[36:37], -v[11:12]
	v_add_f64 v[36:37], v[48:49], -v[46:47]
	v_add_f64 v[62:63], v[58:59], v[28:29]
	v_add_f64 v[64:65], v[17:18], v[24:25]
	v_add_f64 v[28:29], v[58:59], -v[28:29]
	v_fma_f64 v[22:23], v[66:67], s[18:19], v[22:23]
	v_add_f64 v[66:67], v[54:55], v[13:14]
	v_add_f64 v[17:18], v[17:18], -v[24:25]
	v_add_f64 v[13:14], v[54:55], -v[13:14]
	v_fma_f64 v[30:31], v[30:31], s[4:5], v[68:69]
	v_fma_f64 v[26:27], v[26:27], s[8:9], -v[72:73]
	v_add_f64 v[68:69], v[34:35], v[9:10]
	v_add_f64 v[74:75], v[7:8], v[38:39]
	v_add_f64 v[24:25], v[34:35], -v[9:10]
	v_add_f64 v[34:35], v[7:8], -v[38:39]
	v_add3_u32 v38, 0, v3, v0
	s_barrier
	ds_write2_b64 v38, v[32:33], v[56:57] offset1:50
	ds_write2_b64 v38, v[62:63], v[64:65] offset0:100 offset1:150
	ds_write2_b64 v38, v[66:67], v[11:12] offset0:200 offset1:250
	v_add_u32_e32 v32, 0x800, v38
	ds_write2_b64 v32, v[36:37], v[28:29] offset0:44 offset1:94
	ds_write2_b64 v32, v[17:18], v[13:14] offset0:144 offset1:194
	s_waitcnt lgkmcnt(0)
	s_barrier
	ds_read2_b64 v[0:3], v2 offset0:4 offset1:254
	ds_read2_b64 v[12:15], v4 offset1:250
	ds_read2_b64 v[8:11], v5 offset0:4 offset1:254
	ds_read2_b64 v[4:7], v6 offset1:250
	ds_read_b64 v[16:17], v16
	ds_read_b64 v[18:19], v20
	v_add_f64 v[70:71], v[60:61], v[22:23]
	v_add_f64 v[72:73], v[52:53], v[30:31]
	;; [unrolled: 1-line block ×3, first 2 shown]
	v_add_f64 v[22:23], v[60:61], -v[22:23]
	v_add_f64 v[30:31], v[52:53], -v[30:31]
	v_add_f64 v[26:27], v[50:51], -v[26:27]
	s_waitcnt lgkmcnt(0)
	s_barrier
	ds_write2_b64 v38, v[68:69], v[70:71] offset1:50
	ds_write2_b64 v38, v[72:73], v[74:75] offset0:100 offset1:150
	ds_write2_b64 v38, v[76:77], v[24:25] offset0:200 offset1:250
	;; [unrolled: 1-line block ×4, first 2 shown]
	s_waitcnt lgkmcnt(0)
	s_barrier
	s_and_saveexec_b64 s[18:19], vcc
	s_cbranch_execz .LBB0_15
; %bb.14:
	v_lshlrev_b32_e32 v38, 2, v45
	v_mov_b32_e32 v39, 0
	v_lshlrev_b64 v[22:23], 4, v[38:39]
	v_mov_b32_e32 v47, s13
	v_add_co_u32_e32 v26, vcc, s12, v22
	v_addc_co_u32_e32 v27, vcc, v47, v23, vcc
	s_movk_i32 s13, 0x1000
	v_add_co_u32_e32 v22, vcc, s13, v26
	v_addc_co_u32_e32 v23, vcc, 0, v27, vcc
	global_load_dwordx4 v[22:25], v[22:23], off offset:3744
	s_movk_i32 s18, 0x1ea0
	v_add_co_u32_e32 v45, vcc, s18, v26
	v_addc_co_u32_e32 v46, vcc, 0, v27, vcc
	global_load_dwordx4 v[26:29], v[45:46], off offset:48
	global_load_dwordx4 v[30:33], v[45:46], off offset:32
	;; [unrolled: 1-line block ×3, first 2 shown]
	v_lshlrev_b32_e32 v38, 2, v44
	v_lshlrev_b64 v[38:39], 4, v[38:39]
	v_mul_i32_i24_e32 v53, 0xffffffb8, v44
	v_add_co_u32_e32 v73, vcc, s12, v38
	v_addc_co_u32_e32 v74, vcc, v47, v39, vcc
	v_add_co_u32_e32 v38, vcc, s18, v73
	v_addc_co_u32_e32 v39, vcc, 0, v74, vcc
	global_load_dwordx4 v[45:48], v[38:39], off offset:16
	global_load_dwordx4 v[49:52], v[38:39], off offset:32
	v_add_u32_e32 v75, v21, v53
	v_add_u32_e32 v21, 0xf80, v75
	ds_read2_b64 v[53:56], v21 offset0:4 offset1:254
	v_add_u32_e32 v21, 0x3e80, v75
	ds_read2_b64 v[57:60], v21 offset1:250
	v_add_u32_e32 v21, 0x1f40, v75
	ds_read2_b64 v[61:64], v21 offset1:250
	v_add_u32_e32 v65, 0x2ec0, v75
	ds_read2_b64 v[65:68], v65 offset0:4 offset1:254
	s_waitcnt vmcnt(5)
	v_mul_f64 v[69:70], v[2:3], v[24:25]
	s_waitcnt lgkmcnt(3)
	v_mul_f64 v[24:25], v[55:56], v[24:25]
	s_waitcnt vmcnt(4)
	v_mul_f64 v[71:72], v[6:7], v[28:29]
	s_waitcnt lgkmcnt(2)
	v_mul_f64 v[28:29], v[59:60], v[28:29]
	v_fma_f64 v[55:56], v[55:56], v[22:23], v[69:70]
	v_fma_f64 v[69:70], v[2:3], v[22:23], -v[24:25]
	s_waitcnt vmcnt(2) lgkmcnt(1)
	v_mul_f64 v[21:22], v[63:64], v[36:37]
	v_mul_f64 v[2:3], v[14:15], v[36:37]
	v_fma_f64 v[36:37], v[59:60], v[26:27], v[71:72]
	v_fma_f64 v[28:29], v[6:7], v[26:27], -v[28:29]
	v_mul_f64 v[6:7], v[10:11], v[32:33]
	s_waitcnt lgkmcnt(0)
	v_mul_f64 v[23:24], v[67:68], v[32:33]
	v_fma_f64 v[14:15], v[14:15], v[34:35], -v[21:22]
	s_waitcnt vmcnt(1)
	v_mul_f64 v[21:22], v[12:13], v[47:48]
	v_fma_f64 v[2:3], v[63:64], v[34:35], v[2:3]
	s_waitcnt vmcnt(0)
	v_mul_f64 v[25:26], v[8:9], v[51:52]
	v_fma_f64 v[32:33], v[67:68], v[30:31], v[6:7]
	v_fma_f64 v[30:31], v[10:11], v[30:31], -v[23:24]
	v_mul_f64 v[6:7], v[61:62], v[47:48]
	ds_read_b64 v[34:35], v20
	ds_read_b64 v[47:48], v75
	v_add_f64 v[10:11], v[55:56], v[36:37]
	v_fma_f64 v[59:60], v[61:62], v[45:46], v[21:22]
	v_add_f64 v[20:21], v[69:70], v[28:29]
	v_mul_f64 v[22:23], v[65:66], v[51:52]
	v_add_f64 v[63:64], v[2:3], -v[32:33]
	v_add_f64 v[51:52], v[14:15], -v[30:31]
	v_fma_f64 v[45:46], v[12:13], v[45:46], -v[6:7]
	v_add_f64 v[6:7], v[2:3], -v[55:56]
	v_add_f64 v[12:13], v[32:33], -v[36:37]
	s_waitcnt lgkmcnt(1)
	v_fma_f64 v[10:11], v[10:11], -0.5, v[34:35]
	v_fma_f64 v[20:21], v[20:21], -0.5, v[18:19]
	v_fma_f64 v[61:62], v[65:66], v[49:50], v[25:26]
	v_fma_f64 v[49:50], v[8:9], v[49:50], -v[22:23]
	v_add_f64 v[65:66], v[69:70], -v[28:29]
	v_add_f64 v[8:9], v[14:15], -v[69:70]
	;; [unrolled: 1-line block ×4, first 2 shown]
	v_add_f64 v[24:25], v[6:7], v[12:13]
	v_fma_f64 v[6:7], v[51:52], s[14:15], v[10:11]
	v_fma_f64 v[12:13], v[63:64], s[6:7], v[20:21]
	;; [unrolled: 1-line block ×3, first 2 shown]
	v_add_f64 v[26:27], v[8:9], v[22:23]
	v_fma_f64 v[8:9], v[51:52], s[6:7], v[10:11]
	v_fma_f64 v[6:7], v[65:66], s[0:1], v[6:7]
	;; [unrolled: 1-line block ×3, first 2 shown]
	v_add_co_u32_e32 v12, vcc, s13, v73
	v_addc_co_u32_e32 v13, vcc, 0, v74, vcc
	v_fma_f64 v[22:23], v[65:66], s[8:9], v[8:9]
	v_fma_f64 v[20:21], v[67:68], s[0:1], v[20:21]
	;; [unrolled: 1-line block ×4, first 2 shown]
	global_load_dwordx4 v[10:13], v[12:13], off offset:3744
	v_fma_f64 v[22:23], v[24:25], s[4:5], v[22:23]
	v_fma_f64 v[20:21], v[26:27], s[4:5], v[20:21]
	global_load_dwordx4 v[24:27], v[38:39], off offset:48
	v_mul_lo_u32 v38, s17, v42
	v_mul_lo_u32 v39, s16, v43
	v_mad_u64_u32 v[42:43], s[12:13], s16, v42, 0
	v_add3_u32 v43, v43, v39, v38
	s_waitcnt vmcnt(1)
	v_mul_f64 v[38:39], v[0:1], v[12:13]
	v_fma_f64 v[71:72], v[53:54], v[10:11], v[38:39]
	v_mul_f64 v[38:39], v[53:54], v[12:13]
	s_waitcnt vmcnt(0)
	v_mul_f64 v[12:13], v[4:5], v[26:27]
	v_fma_f64 v[53:54], v[57:58], v[24:25], v[12:13]
	v_add_f64 v[12:13], v[2:3], v[32:33]
	v_mul_f64 v[57:58], v[57:58], v[26:27]
	v_add_f64 v[26:27], v[55:56], v[34:35]
	v_fma_f64 v[12:13], v[12:13], -0.5, v[34:35]
	v_add_f64 v[34:35], v[55:56], -v[2:3]
	v_add_f64 v[55:56], v[36:37], -v[32:33]
	v_add_f64 v[2:3], v[2:3], v[26:27]
	v_fma_f64 v[4:5], v[4:5], v[24:25], -v[57:58]
	v_add_f64 v[24:25], v[59:60], -v[71:72]
	v_fma_f64 v[26:27], v[65:66], s[6:7], v[12:13]
	v_fma_f64 v[12:13], v[65:66], s[14:15], v[12:13]
	v_add_f64 v[34:35], v[34:35], v[55:56]
	v_add_f64 v[55:56], v[14:15], v[30:31]
	;; [unrolled: 1-line block ×3, first 2 shown]
	v_add_f64 v[2:3], v[69:70], -v[14:15]
	v_fma_f64 v[26:27], v[51:52], s[0:1], v[26:27]
	v_fma_f64 v[12:13], v[51:52], s[8:9], v[12:13]
	v_add_f64 v[51:52], v[28:29], -v[30:31]
	v_fma_f64 v[55:56], v[55:56], -0.5, v[18:19]
	v_add_f64 v[18:19], v[18:19], v[69:70]
	v_fma_f64 v[12:13], v[34:35], s[4:5], v[12:13]
	v_add_f64 v[51:52], v[2:3], v[51:52]
	v_fma_f64 v[65:66], v[67:68], s[14:15], v[55:56]
	v_fma_f64 v[55:56], v[67:68], s[6:7], v[55:56]
	;; [unrolled: 1-line block ×3, first 2 shown]
	v_add_f64 v[34:35], v[71:72], v[53:54]
	v_add_f64 v[26:27], v[36:37], v[32:33]
	;; [unrolled: 1-line block ×3, first 2 shown]
	v_fma_f64 v[32:33], v[63:64], s[8:9], v[65:66]
	v_fma_f64 v[36:37], v[63:64], s[0:1], v[55:56]
	v_fma_f64 v[55:56], v[0:1], v[10:11], -v[38:39]
	v_add_f64 v[10:11], v[59:60], v[61:62]
	s_waitcnt lgkmcnt(0)
	v_fma_f64 v[18:19], v[34:35], -0.5, v[47:48]
	v_add_f64 v[34:35], v[45:46], -v[49:50]
	v_add_f64 v[14:15], v[14:15], v[30:31]
	v_add_f64 v[65:66], v[4:5], -v[49:50]
	v_fma_f64 v[0:1], v[51:52], s[4:5], v[32:33]
	v_add_f64 v[32:33], v[61:62], -v[53:54]
	v_add_f64 v[38:39], v[55:56], -v[4:5]
	v_fma_f64 v[57:58], v[10:11], -0.5, v[47:48]
	v_fma_f64 v[10:11], v[51:52], s[4:5], v[36:37]
	v_fma_f64 v[30:31], v[34:35], s[14:15], v[18:19]
	;; [unrolled: 1-line block ×3, first 2 shown]
	v_add_f64 v[36:37], v[71:72], -v[59:60]
	v_add_f64 v[51:52], v[53:54], -v[61:62]
	v_add_f64 v[47:48], v[71:72], v[47:48]
	v_add_f64 v[32:33], v[24:25], v[32:33]
	v_fma_f64 v[63:64], v[38:39], s[6:7], v[57:58]
	v_fma_f64 v[57:58], v[38:39], s[14:15], v[57:58]
	;; [unrolled: 1-line block ×4, first 2 shown]
	v_add_f64 v[24:25], v[14:15], v[28:29]
	v_add_f64 v[28:29], v[55:56], v[4:5]
	;; [unrolled: 1-line block ×4, first 2 shown]
	v_fma_f64 v[36:37], v[34:35], s[0:1], v[63:64]
	v_fma_f64 v[51:52], v[34:35], s[8:9], v[57:58]
	v_add_f64 v[57:58], v[45:46], v[49:50]
	v_fma_f64 v[18:19], v[32:33], s[4:5], v[30:31]
	v_fma_f64 v[30:31], v[32:33], s[4:5], v[38:39]
	v_add_f64 v[32:33], v[59:60], -v[61:62]
	v_fma_f64 v[28:29], v[28:29], -0.5, v[16:17]
	v_add_f64 v[59:60], v[71:72], -v[53:54]
	v_fma_f64 v[34:35], v[14:15], s[4:5], v[36:37]
	v_fma_f64 v[38:39], v[14:15], s[4:5], v[51:52]
	v_add_f64 v[14:15], v[61:62], v[47:48]
	v_add_f64 v[36:37], v[45:46], -v[55:56]
	v_add_f64 v[51:52], v[49:50], -v[4:5]
	v_fma_f64 v[57:58], v[57:58], -0.5, v[16:17]
	v_add_f64 v[16:17], v[16:17], v[55:56]
	v_fma_f64 v[61:62], v[32:33], s[6:7], v[28:29]
	v_fma_f64 v[28:29], v[32:33], s[14:15], v[28:29]
	v_add_f64 v[63:64], v[55:56], -v[45:46]
	v_add_f64 v[47:48], v[53:54], v[14:15]
	v_add_f64 v[14:15], v[36:37], v[51:52]
	v_fma_f64 v[36:37], v[59:60], s[14:15], v[57:58]
	v_fma_f64 v[51:52], v[59:60], s[6:7], v[57:58]
	v_add_f64 v[16:17], v[45:46], v[16:17]
	s_mov_b32 s6, 0x10624dd3
	v_mul_hi_u32 v57, v44, s6
	v_fma_f64 v[53:54], v[59:60], s[8:9], v[61:62]
	v_fma_f64 v[28:29], v[59:60], s[0:1], v[28:29]
	v_add_f64 v[55:56], v[63:64], v[65:66]
	v_fma_f64 v[36:37], v[32:33], s[8:9], v[36:37]
	v_fma_f64 v[45:46], v[32:33], s[0:1], v[51:52]
	v_lshrrev_b32_e32 v32, 5, v57
	v_mul_u32_u24_e32 v32, 0x1f4, v32
	v_sub_u32_e32 v57, v44, v32
	v_add_f64 v[49:50], v[16:17], v[49:50]
	v_mad_u64_u32 v[51:52], s[0:1], s2, v57, 0
	v_fma_f64 v[16:17], v[14:15], s[4:5], v[53:54]
	v_fma_f64 v[28:29], v[14:15], s[4:5], v[28:29]
	v_mov_b32_e32 v14, v52
	v_mad_u64_u32 v[14:15], s[0:1], s3, v57, v[14:15]
	v_fma_f64 v[32:33], v[55:56], s[4:5], v[36:37]
	v_fma_f64 v[36:37], v[55:56], s[4:5], v[45:46]
	v_add_f64 v[45:46], v[49:50], v[4:5]
	v_lshlrev_b64 v[4:5], 4, v[42:43]
	v_mov_b32_e32 v52, v14
	v_mov_b32_e32 v14, s11
	v_add_co_u32_e32 v42, vcc, s10, v4
	v_addc_co_u32_e32 v43, vcc, v14, v5, vcc
	v_lshlrev_b64 v[4:5], 4, v[40:41]
	v_add_u32_e32 v40, 0x1f4, v57
	v_mad_u64_u32 v[14:15], s[0:1], s2, v40, 0
	v_add_co_u32_e32 v49, vcc, v42, v4
	v_mad_u64_u32 v[40:41], s[0:1], s3, v40, v[15:16]
	v_addc_co_u32_e32 v43, vcc, v43, v5, vcc
	v_lshlrev_b64 v[4:5], 4, v[51:52]
	v_mov_b32_e32 v15, v40
	v_add_co_u32_e32 v4, vcc, v49, v4
	v_addc_co_u32_e32 v5, vcc, v43, v5, vcc
	v_add_u32_e32 v40, 0x3e8, v57
	global_store_dwordx4 v[4:5], v[45:48], off
	v_lshlrev_b64 v[4:5], 4, v[14:15]
	v_mad_u64_u32 v[14:15], s[0:1], s2, v40, 0
	v_add_u32_e32 v45, 0x5dc, v57
	v_add_co_u32_e32 v4, vcc, v49, v4
	v_mad_u64_u32 v[40:41], s[0:1], s3, v40, v[15:16]
	v_mad_u64_u32 v[41:42], s[0:1], s2, v45, 0
	v_addc_co_u32_e32 v5, vcc, v43, v5, vcc
	v_mov_b32_e32 v15, v40
	global_store_dwordx4 v[4:5], v[36:39], off
	v_lshlrev_b64 v[4:5], 4, v[14:15]
	v_mov_b32_e32 v14, v42
	v_mad_u64_u32 v[14:15], s[0:1], s3, v45, v[14:15]
	v_add_co_u32_e32 v4, vcc, v49, v4
	v_addc_co_u32_e32 v5, vcc, v43, v5, vcc
	global_store_dwordx4 v[4:5], v[28:31], off
	v_mov_b32_e32 v42, v14
	v_add_u32_e32 v28, 0x7d0, v57
	v_add_u32_e32 v30, 0xfa, v44
	v_mad_u64_u32 v[14:15], s[0:1], s2, v28, 0
	v_mul_hi_u32 v31, v30, s6
	v_lshlrev_b64 v[4:5], 4, v[41:42]
	v_mad_u64_u32 v[28:29], s[0:1], s3, v28, v[15:16]
	v_lshrrev_b32_e32 v15, 5, v31
	v_mul_u32_u24_e32 v29, 0x1f4, v15
	v_sub_u32_e32 v29, v30, v29
	s_movk_i32 s0, 0x9c4
	v_mad_u32_u24 v31, v15, s0, v29
	v_mad_u64_u32 v[29:30], s[0:1], s2, v31, 0
	v_add_co_u32_e32 v4, vcc, v49, v4
	v_addc_co_u32_e32 v5, vcc, v43, v5, vcc
	v_mov_b32_e32 v15, v28
	global_store_dwordx4 v[4:5], v[16:19], off
	v_lshlrev_b64 v[4:5], 4, v[14:15]
	v_mov_b32_e32 v14, v30
	v_mad_u64_u32 v[14:15], s[0:1], s3, v31, v[14:15]
	v_add_u32_e32 v16, 0x1f4, v31
	v_add_co_u32_e32 v4, vcc, v49, v4
	v_mov_b32_e32 v30, v14
	v_mad_u64_u32 v[14:15], s[0:1], s2, v16, 0
	v_addc_co_u32_e32 v5, vcc, v43, v5, vcc
	global_store_dwordx4 v[4:5], v[32:35], off
	v_lshlrev_b64 v[4:5], 4, v[29:30]
	v_mad_u64_u32 v[15:16], s[0:1], s3, v16, v[15:16]
	v_add_co_u32_e32 v4, vcc, v49, v4
	v_addc_co_u32_e32 v5, vcc, v43, v5, vcc
	v_add_u32_e32 v18, 0x3e8, v31
	v_mad_u64_u32 v[16:17], s[0:1], s2, v18, 0
	global_store_dwordx4 v[4:5], v[24:27], off
	v_lshlrev_b64 v[4:5], 4, v[14:15]
	v_mov_b32_e32 v14, v17
	v_add_co_u32_e32 v4, vcc, v49, v4
	v_addc_co_u32_e32 v5, vcc, v43, v5, vcc
	global_store_dwordx4 v[4:5], v[10:13], off
	v_mad_u64_u32 v[14:15], s[0:1], s3, v18, v[14:15]
	v_add_u32_e32 v12, 0x5dc, v31
	v_mad_u64_u32 v[10:11], s[0:1], s2, v12, 0
	v_mov_b32_e32 v17, v14
	v_add_u32_e32 v14, 0x7d0, v31
	v_mad_u64_u32 v[11:12], s[0:1], s3, v12, v[11:12]
	v_lshlrev_b64 v[4:5], 4, v[16:17]
	v_mad_u64_u32 v[12:13], s[0:1], s2, v14, 0
	v_add_co_u32_e32 v4, vcc, v49, v4
	v_addc_co_u32_e32 v5, vcc, v43, v5, vcc
	global_store_dwordx4 v[4:5], v[20:23], off
	v_lshlrev_b64 v[4:5], 4, v[10:11]
	v_mov_b32_e32 v10, v13
	v_mad_u64_u32 v[10:11], s[0:1], s3, v14, v[10:11]
	v_add_co_u32_e32 v4, vcc, v49, v4
	v_addc_co_u32_e32 v5, vcc, v43, v5, vcc
	v_mov_b32_e32 v13, v10
	global_store_dwordx4 v[4:5], v[6:9], off
	v_lshlrev_b64 v[4:5], 4, v[12:13]
	v_add_co_u32_e32 v4, vcc, v49, v4
	v_addc_co_u32_e32 v5, vcc, v43, v5, vcc
	global_store_dwordx4 v[4:5], v[0:3], off
.LBB0_15:
	s_endpgm
	.section	.rodata,"a",@progbits
	.p2align	6, 0x0
	.amdhsa_kernel fft_rtc_fwd_len2500_factors_10_5_10_5_wgs_250_tpt_250_halfLds_dp_op_CI_CI_sbrr_dirReg
		.amdhsa_group_segment_fixed_size 0
		.amdhsa_private_segment_fixed_size 0
		.amdhsa_kernarg_size 104
		.amdhsa_user_sgpr_count 6
		.amdhsa_user_sgpr_private_segment_buffer 1
		.amdhsa_user_sgpr_dispatch_ptr 0
		.amdhsa_user_sgpr_queue_ptr 0
		.amdhsa_user_sgpr_kernarg_segment_ptr 1
		.amdhsa_user_sgpr_dispatch_id 0
		.amdhsa_user_sgpr_flat_scratch_init 0
		.amdhsa_user_sgpr_private_segment_size 0
		.amdhsa_uses_dynamic_stack 0
		.amdhsa_system_sgpr_private_segment_wavefront_offset 0
		.amdhsa_system_sgpr_workgroup_id_x 1
		.amdhsa_system_sgpr_workgroup_id_y 0
		.amdhsa_system_sgpr_workgroup_id_z 0
		.amdhsa_system_sgpr_workgroup_info 0
		.amdhsa_system_vgpr_workitem_id 0
		.amdhsa_next_free_vgpr 84
		.amdhsa_next_free_sgpr 32
		.amdhsa_reserve_vcc 1
		.amdhsa_reserve_flat_scratch 0
		.amdhsa_float_round_mode_32 0
		.amdhsa_float_round_mode_16_64 0
		.amdhsa_float_denorm_mode_32 3
		.amdhsa_float_denorm_mode_16_64 3
		.amdhsa_dx10_clamp 1
		.amdhsa_ieee_mode 1
		.amdhsa_fp16_overflow 0
		.amdhsa_exception_fp_ieee_invalid_op 0
		.amdhsa_exception_fp_denorm_src 0
		.amdhsa_exception_fp_ieee_div_zero 0
		.amdhsa_exception_fp_ieee_overflow 0
		.amdhsa_exception_fp_ieee_underflow 0
		.amdhsa_exception_fp_ieee_inexact 0
		.amdhsa_exception_int_div_zero 0
	.end_amdhsa_kernel
	.text
.Lfunc_end0:
	.size	fft_rtc_fwd_len2500_factors_10_5_10_5_wgs_250_tpt_250_halfLds_dp_op_CI_CI_sbrr_dirReg, .Lfunc_end0-fft_rtc_fwd_len2500_factors_10_5_10_5_wgs_250_tpt_250_halfLds_dp_op_CI_CI_sbrr_dirReg
                                        ; -- End function
	.section	.AMDGPU.csdata,"",@progbits
; Kernel info:
; codeLenInByte = 9028
; NumSgprs: 36
; NumVgprs: 84
; ScratchSize: 0
; MemoryBound: 1
; FloatMode: 240
; IeeeMode: 1
; LDSByteSize: 0 bytes/workgroup (compile time only)
; SGPRBlocks: 4
; VGPRBlocks: 20
; NumSGPRsForWavesPerEU: 36
; NumVGPRsForWavesPerEU: 84
; Occupancy: 3
; WaveLimiterHint : 1
; COMPUTE_PGM_RSRC2:SCRATCH_EN: 0
; COMPUTE_PGM_RSRC2:USER_SGPR: 6
; COMPUTE_PGM_RSRC2:TRAP_HANDLER: 0
; COMPUTE_PGM_RSRC2:TGID_X_EN: 1
; COMPUTE_PGM_RSRC2:TGID_Y_EN: 0
; COMPUTE_PGM_RSRC2:TGID_Z_EN: 0
; COMPUTE_PGM_RSRC2:TIDIG_COMP_CNT: 0
	.type	__hip_cuid_ae88fea1fda66e24,@object ; @__hip_cuid_ae88fea1fda66e24
	.section	.bss,"aw",@nobits
	.globl	__hip_cuid_ae88fea1fda66e24
__hip_cuid_ae88fea1fda66e24:
	.byte	0                               ; 0x0
	.size	__hip_cuid_ae88fea1fda66e24, 1

	.ident	"AMD clang version 19.0.0git (https://github.com/RadeonOpenCompute/llvm-project roc-6.4.0 25133 c7fe45cf4b819c5991fe208aaa96edf142730f1d)"
	.section	".note.GNU-stack","",@progbits
	.addrsig
	.addrsig_sym __hip_cuid_ae88fea1fda66e24
	.amdgpu_metadata
---
amdhsa.kernels:
  - .args:
      - .actual_access:  read_only
        .address_space:  global
        .offset:         0
        .size:           8
        .value_kind:     global_buffer
      - .offset:         8
        .size:           8
        .value_kind:     by_value
      - .actual_access:  read_only
        .address_space:  global
        .offset:         16
        .size:           8
        .value_kind:     global_buffer
      - .actual_access:  read_only
        .address_space:  global
        .offset:         24
        .size:           8
        .value_kind:     global_buffer
      - .actual_access:  read_only
        .address_space:  global
        .offset:         32
        .size:           8
        .value_kind:     global_buffer
      - .offset:         40
        .size:           8
        .value_kind:     by_value
      - .actual_access:  read_only
        .address_space:  global
        .offset:         48
        .size:           8
        .value_kind:     global_buffer
      - .actual_access:  read_only
        .address_space:  global
        .offset:         56
        .size:           8
        .value_kind:     global_buffer
      - .offset:         64
        .size:           4
        .value_kind:     by_value
      - .actual_access:  read_only
        .address_space:  global
        .offset:         72
        .size:           8
        .value_kind:     global_buffer
      - .actual_access:  read_only
        .address_space:  global
        .offset:         80
        .size:           8
        .value_kind:     global_buffer
      - .actual_access:  read_only
        .address_space:  global
        .offset:         88
        .size:           8
        .value_kind:     global_buffer
      - .actual_access:  write_only
        .address_space:  global
        .offset:         96
        .size:           8
        .value_kind:     global_buffer
    .group_segment_fixed_size: 0
    .kernarg_segment_align: 8
    .kernarg_segment_size: 104
    .language:       OpenCL C
    .language_version:
      - 2
      - 0
    .max_flat_workgroup_size: 250
    .name:           fft_rtc_fwd_len2500_factors_10_5_10_5_wgs_250_tpt_250_halfLds_dp_op_CI_CI_sbrr_dirReg
    .private_segment_fixed_size: 0
    .sgpr_count:     36
    .sgpr_spill_count: 0
    .symbol:         fft_rtc_fwd_len2500_factors_10_5_10_5_wgs_250_tpt_250_halfLds_dp_op_CI_CI_sbrr_dirReg.kd
    .uniform_work_group_size: 1
    .uses_dynamic_stack: false
    .vgpr_count:     84
    .vgpr_spill_count: 0
    .wavefront_size: 64
amdhsa.target:   amdgcn-amd-amdhsa--gfx906
amdhsa.version:
  - 1
  - 2
...

	.end_amdgpu_metadata
